;; amdgpu-corpus repo=triton-lang/triton kind=triton arch=gfx1201 opt=O3 lang=triton
	.amdgcn_target "amdgcn-amd-amdhsa--gfx1201"
	.amdhsa_code_object_version 5
	.text
	.globl	indirect_matmul_kernel          ; -- Begin function indirect_matmul_kernel
	.p2align	8
	.type	indirect_matmul_kernel,@function
indirect_matmul_kernel:                 ; @indirect_matmul_kernel
.Lfunc_begin0:
	.file	1 "/root/src/amdgpu-assembly/repos/triton-lang__triton-aot" "indirect_matmul.py"
	.loc	1 8 0                           ; indirect_matmul.py:8:0
	.cfi_sections .debug_frame
	.cfi_startproc
; %bb.0:
	s_load_b96 s[8:10], s[0:1], 0x30
.Ltmp0:
	.loc	1 42 28 prologue_end            ; indirect_matmul.py:42:28
	s_bfe_u32 s2, ttmp8, 0x50019
	s_delay_alu instid0(SALU_CYCLE_1)
	.loc	1 23 40                         ; indirect_matmul.py:23:40
	s_bfe_u32 s3, s2, 0x10001
	s_and_b32 s11, s2, 2
	s_lshl_b32 s12, s3, 2
	s_lshl_b32 s13, s2, 5
	.loc	1 33 22                         ; indirect_matmul.py:33:22
	s_lshl_b32 s2, s11, 1
	s_or_b32 s3, s12, 8
	s_or_b32 s4, s12, 16
	;; [unrolled: 1-line block ×13, first 2 shown]
	s_wait_kmcnt 0x0
	s_and_b32 s5, s9, 0xffff
	s_or_b32 s23, s12, 0x70
	s_or_b32 s24, s12, 0x78
	;; [unrolled: 1-line block ×18, first 2 shown]
	.loc	1 32 25                         ; indirect_matmul.py:32:25
	s_cmp_gt_i32 s10, 0
	.loc	1 23 40                         ; indirect_matmul.py:23:40
	v_and_or_b32 v33, v0, 31, s13
	.loc	1 32 25                         ; indirect_matmul.py:32:25
	s_cselect_b32 s46, -1, 0
	s_delay_alu instid0(SALU_CYCLE_1)
	.loc	1 33 22                         ; indirect_matmul.py:33:22
	s_and_b32 s42, s46, exec_lo
	s_cselect_b32 s2, s2, 0x80000000
	s_cselect_b32 s3, s3, 0x80000000
	;; [unrolled: 1-line block ×3, first 2 shown]
	v_dual_mov_b32 v1, s2 :: v_dual_mov_b32 v2, s3
	s_cselect_b32 s43, s6, 0x80000000
	s_cselect_b32 s44, s7, 0x80000000
	;; [unrolled: 1-line block ×5, first 2 shown]
	v_dual_mov_b32 v3, s42 :: v_dual_mov_b32 v4, s43
	s_cselect_b32 s17, s17, 0x80000000
	s_mov_b32 s7, 0x31027000
	s_mov_b32 s6, 0x7ffffffe
	;; [unrolled: 1-line block ×3, first 2 shown]
	s_cselect_b32 s18, s18, 0x80000000
	v_dual_mov_b32 v5, s44 :: v_dual_mov_b32 v6, s14
	v_dual_mov_b32 v7, s15 :: v_dual_mov_b32 v8, s16
	s_cselect_b32 s19, s19, 0x80000000
	s_clause 0x7
	buffer_load_b32 v9, v1, s[4:7], null offen
	buffer_load_b32 v2, v2, s[4:7], null offen
	buffer_load_b32 v3, v3, s[4:7], null offen
	buffer_load_b32 v4, v4, s[4:7], null offen
	buffer_load_b32 v5, v5, s[4:7], null offen
	buffer_load_b32 v6, v6, s[4:7], null offen
	buffer_load_b32 v7, v7, s[4:7], null offen
	buffer_load_b32 v8, v8, s[4:7], null offen
	v_dual_mov_b32 v1, s17 :: v_dual_mov_b32 v10, s18
	s_cselect_b32 s20, s20, 0x80000000
	s_cselect_b32 s21, s21, 0x80000000
	;; [unrolled: 1-line block ×5, first 2 shown]
	v_dual_mov_b32 v11, s19 :: v_dual_mov_b32 v12, s20
	s_cselect_b32 s25, s25, 0x80000000
	s_cselect_b32 s26, s26, 0x80000000
	v_dual_mov_b32 v13, s21 :: v_dual_mov_b32 v14, s22
	v_dual_mov_b32 v15, s23 :: v_dual_mov_b32 v16, s24
	s_cselect_b32 s27, s27, 0x80000000
	s_clause 0x7
	buffer_load_b32 v17, v1, s[4:7], null offen
	buffer_load_b32 v10, v10, s[4:7], null offen
	;; [unrolled: 1-line block ×8, first 2 shown]
	v_dual_mov_b32 v1, s25 :: v_dual_mov_b32 v18, s26
	s_cselect_b32 s28, s28, 0x80000000
	s_cselect_b32 s29, s29, 0x80000000
	;; [unrolled: 1-line block ×5, first 2 shown]
	v_dual_mov_b32 v19, s27 :: v_dual_mov_b32 v20, s28
	s_cselect_b32 s34, s34, 0x80000000
	s_cselect_b32 s35, s35, 0x80000000
	v_dual_mov_b32 v21, s29 :: v_dual_mov_b32 v22, s30
	v_dual_mov_b32 v23, s31 :: v_dual_mov_b32 v24, s33
	s_cselect_b32 s36, s36, 0x80000000
	s_clause 0x7
	buffer_load_b32 v25, v1, s[4:7], null offen
	buffer_load_b32 v18, v18, s[4:7], null offen
	;; [unrolled: 1-line block ×8, first 2 shown]
	v_dual_mov_b32 v1, s34 :: v_dual_mov_b32 v26, s35
	s_cselect_b32 s37, s37, 0x80000000
	s_cselect_b32 s38, s38, 0x80000000
	;; [unrolled: 1-line block ×5, first 2 shown]
	v_dual_mov_b32 v27, s36 :: v_dual_mov_b32 v28, s37
	v_dual_mov_b32 v29, s38 :: v_dual_mov_b32 v30, s39
	;; [unrolled: 1-line block ×3, first 2 shown]
	s_clause 0x7
	buffer_load_b32 v36, v1, s[4:7], null offen
	buffer_load_b32 v26, v26, s[4:7], null offen
	;; [unrolled: 1-line block ×8, first 2 shown]
	s_load_b96 s[4:6], s[0:1], 0x10
	.loc	1 23 40                         ; indirect_matmul.py:23:40
	v_and_b32_e32 v1, 63, v33
	.loc	1 32 25                         ; indirect_matmul.py:32:25
	s_cmp_lt_i32 s10, 1
	.loc	1 33 22                         ; indirect_matmul.py:33:22
	s_wait_loadcnt 0x1f
	v_readfirstlane_b32 s45, v9
	s_wait_loadcnt 0x1e
	v_readfirstlane_b32 s44, v2
	v_dual_mov_b32 v2, 0 :: v_dual_lshlrev_b32 v37, 1, v1
	.loc	1 28 17                         ; indirect_matmul.py:28:17
	v_mov_b32_e32 v1, 0
	.loc	1 33 22                         ; indirect_matmul.py:33:22
	s_wait_loadcnt 0x1d
	v_readfirstlane_b32 s43, v3
	s_wait_loadcnt 0x1c
	v_readfirstlane_b32 s42, v4
	;; [unrolled: 2-line block ×3, first 2 shown]
	.loc	1 28 17                         ; indirect_matmul.py:28:17
	s_wait_kmcnt 0x0
	v_add_co_u32 v34, s2, s4, v37
	s_wait_alu depctr_va_sdst(0)
	v_add_co_ci_u32_e64 v35, null, s5, 0, s2
	.loc	1 33 22                         ; indirect_matmul.py:33:22
	s_wait_loadcnt 0x1a
	v_readfirstlane_b32 s40, v6
	s_wait_loadcnt 0x19
	v_readfirstlane_b32 s39, v7
	;; [unrolled: 2-line block ×27, first 2 shown]
	.loc	1 35 20                         ; indirect_matmul.py:35:20
	s_cbranch_scc1 .LBB0_2
; %bb.1:
	.loc	1 0 20 is_stmt 0                ; indirect_matmul.py:0:20
	s_mul_i32 s4, s45, s6
	s_wait_alu depctr_sa_sdst(0)
	s_ashr_i32 s5, s4, 31
	s_wait_alu depctr_sa_sdst(0)
	s_lshl_b64 s[4:5], s[4:5], 1
	s_wait_alu depctr_sa_sdst(0)
	v_add_co_u32 v2, vcc_lo, v34, s4
	s_delay_alu instid0(VALU_DEP_1)
	v_add_co_ci_u32_e64 v3, null, s5, v35, vcc_lo
	.loc	1 35 20                         ; indirect_matmul.py:35:20
	global_load_u16 v2, v[2:3], off
.LBB0_2:
	v_cndmask_b32_e64 v3, 0, 1, s46
	s_and_not1_b32 vcc_lo, exec_lo, s46
	s_delay_alu instid0(VALU_DEP_1)
	v_cmp_ne_u32_e64 s2, 1, v3
	s_wait_alu depctr_sa_sdst(0)
	s_cbranch_vccnz .LBB0_4
; %bb.3:
	.loc	1 35 44                         ; indirect_matmul.py:35:44
	s_mul_i32 s4, s44, s6
	.loc	1 35 29                         ; indirect_matmul.py:35:29
	s_wait_alu depctr_sa_sdst(0)
	s_ashr_i32 s5, s4, 31
	s_wait_alu depctr_sa_sdst(0)
	s_lshl_b64 s[4:5], s[4:5], 1
	s_wait_alu depctr_sa_sdst(0)
	v_add_co_u32 v3, vcc_lo, v34, s4
	s_wait_alu depctr_va_vcc(0)
	v_add_co_ci_u32_e64 v4, null, s5, v35, vcc_lo
	.loc	1 35 20                         ; indirect_matmul.py:35:20
	global_load_u16 v1, v[3:4], off
.LBB0_4:
	.loc	1 0 20                          ; indirect_matmul.py:0:20
	v_dual_mov_b32 v3, 0 :: v_dual_mov_b32 v4, 0
	.loc	1 35 20                         ; indirect_matmul.py:35:20
	s_and_b32 vcc_lo, exec_lo, s2
	s_wait_alu depctr_sa_sdst(0)
	s_cbranch_vccnz .LBB0_6
; %bb.5:
	.loc	1 35 44                         ; indirect_matmul.py:35:44
	s_mul_i32 s4, s43, s6
	.loc	1 35 29                         ; indirect_matmul.py:35:29
	s_wait_alu depctr_sa_sdst(0)
	s_ashr_i32 s5, s4, 31
	s_wait_alu depctr_sa_sdst(0)
	s_lshl_b64 s[4:5], s[4:5], 1
	s_wait_alu depctr_sa_sdst(0)
	v_add_co_u32 v4, vcc_lo, v34, s4
	s_wait_alu depctr_va_vcc(0)
	v_add_co_ci_u32_e64 v5, null, s5, v35, vcc_lo
	.loc	1 35 20                         ; indirect_matmul.py:35:20
	global_load_u16 v4, v[4:5], off
.LBB0_6:
	s_and_b32 vcc_lo, exec_lo, s2
	s_wait_alu depctr_sa_sdst(0)
	s_cbranch_vccnz .LBB0_8
; %bb.7:
	.loc	1 35 44                         ; indirect_matmul.py:35:44
	s_mul_i32 s4, s42, s6
	.loc	1 35 29                         ; indirect_matmul.py:35:29
	s_wait_alu depctr_sa_sdst(0)
	s_ashr_i32 s5, s4, 31
	s_wait_alu depctr_sa_sdst(0)
	s_lshl_b64 s[4:5], s[4:5], 1
	s_wait_alu depctr_sa_sdst(0)
	v_add_co_u32 v5, vcc_lo, v34, s4
	s_wait_alu depctr_va_vcc(0)
	v_add_co_ci_u32_e64 v6, null, s5, v35, vcc_lo
	.loc	1 35 20                         ; indirect_matmul.py:35:20
	global_load_u16 v3, v[5:6], off
.LBB0_8:
	.loc	1 0 20                          ; indirect_matmul.py:0:20
	v_dual_mov_b32 v5, 0 :: v_dual_mov_b32 v6, 0
	.loc	1 35 20                         ; indirect_matmul.py:35:20
	s_and_b32 vcc_lo, exec_lo, s2
	s_wait_alu depctr_sa_sdst(0)
	s_cbranch_vccnz .LBB0_10
; %bb.9:
	.loc	1 35 44                         ; indirect_matmul.py:35:44
	s_mul_i32 s4, s41, s6
	.loc	1 35 29                         ; indirect_matmul.py:35:29
	s_wait_alu depctr_sa_sdst(0)
	s_ashr_i32 s5, s4, 31
	s_wait_alu depctr_sa_sdst(0)
	s_lshl_b64 s[4:5], s[4:5], 1
	s_wait_alu depctr_sa_sdst(0)
	v_add_co_u32 v6, vcc_lo, v34, s4
	s_wait_alu depctr_va_vcc(0)
	v_add_co_ci_u32_e64 v7, null, s5, v35, vcc_lo
	.loc	1 35 20                         ; indirect_matmul.py:35:20
	global_load_u16 v6, v[6:7], off
.LBB0_10:
	s_and_b32 vcc_lo, exec_lo, s2
	s_wait_alu depctr_sa_sdst(0)
	s_cbranch_vccnz .LBB0_12
; %bb.11:
	.loc	1 35 44                         ; indirect_matmul.py:35:44
	s_mul_i32 s4, s40, s6
	.loc	1 35 29                         ; indirect_matmul.py:35:29
	s_wait_alu depctr_sa_sdst(0)
	s_ashr_i32 s5, s4, 31
	s_wait_alu depctr_sa_sdst(0)
	s_lshl_b64 s[4:5], s[4:5], 1
	s_wait_alu depctr_sa_sdst(0)
	v_add_co_u32 v7, vcc_lo, v34, s4
	s_wait_alu depctr_va_vcc(0)
	v_add_co_ci_u32_e64 v8, null, s5, v35, vcc_lo
	.loc	1 35 20                         ; indirect_matmul.py:35:20
	global_load_u16 v5, v[7:8], off
.LBB0_12:
	.loc	1 0 20                          ; indirect_matmul.py:0:20
	v_dual_mov_b32 v7, 0 :: v_dual_mov_b32 v8, 0
	.loc	1 35 20                         ; indirect_matmul.py:35:20
	s_and_b32 vcc_lo, exec_lo, s2
	s_wait_alu depctr_sa_sdst(0)
	s_cbranch_vccnz .LBB0_14
; %bb.13:
	.loc	1 35 44                         ; indirect_matmul.py:35:44
	s_mul_i32 s4, s39, s6
	.loc	1 35 29                         ; indirect_matmul.py:35:29
	s_wait_alu depctr_sa_sdst(0)
	s_ashr_i32 s5, s4, 31
	s_wait_alu depctr_sa_sdst(0)
	s_lshl_b64 s[4:5], s[4:5], 1
	s_wait_alu depctr_sa_sdst(0)
	v_add_co_u32 v8, vcc_lo, v34, s4
	s_wait_alu depctr_va_vcc(0)
	v_add_co_ci_u32_e64 v9, null, s5, v35, vcc_lo
	.loc	1 35 20                         ; indirect_matmul.py:35:20
	global_load_u16 v8, v[8:9], off
.LBB0_14:
	s_and_b32 vcc_lo, exec_lo, s2
	s_wait_alu depctr_sa_sdst(0)
	s_cbranch_vccnz .LBB0_16
; %bb.15:
	.loc	1 35 44                         ; indirect_matmul.py:35:44
	s_mul_i32 s4, s38, s6
	.loc	1 35 29                         ; indirect_matmul.py:35:29
	s_wait_alu depctr_sa_sdst(0)
	s_ashr_i32 s5, s4, 31
	s_wait_alu depctr_sa_sdst(0)
	s_lshl_b64 s[4:5], s[4:5], 1
	s_wait_alu depctr_sa_sdst(0)
	v_add_co_u32 v9, vcc_lo, v34, s4
	s_wait_alu depctr_va_vcc(0)
	v_add_co_ci_u32_e64 v10, null, s5, v35, vcc_lo
	.loc	1 35 20                         ; indirect_matmul.py:35:20
	global_load_u16 v7, v[9:10], off
.LBB0_16:
	.loc	1 0 20                          ; indirect_matmul.py:0:20
	v_dual_mov_b32 v9, 0 :: v_dual_mov_b32 v10, 0
	.loc	1 35 20                         ; indirect_matmul.py:35:20
	s_and_b32 vcc_lo, exec_lo, s2
	s_wait_alu depctr_sa_sdst(0)
	s_cbranch_vccnz .LBB0_18
; %bb.17:
	.loc	1 35 44                         ; indirect_matmul.py:35:44
	s_mul_i32 s4, s37, s6
	.loc	1 35 29                         ; indirect_matmul.py:35:29
	s_wait_alu depctr_sa_sdst(0)
	s_ashr_i32 s5, s4, 31
	s_wait_alu depctr_sa_sdst(0)
	s_lshl_b64 s[4:5], s[4:5], 1
	s_wait_alu depctr_sa_sdst(0)
	v_add_co_u32 v10, vcc_lo, v34, s4
	s_wait_alu depctr_va_vcc(0)
	v_add_co_ci_u32_e64 v11, null, s5, v35, vcc_lo
	.loc	1 35 20                         ; indirect_matmul.py:35:20
	global_load_u16 v10, v[10:11], off
.LBB0_18:
	s_and_b32 vcc_lo, exec_lo, s2
	s_wait_alu depctr_sa_sdst(0)
	s_cbranch_vccnz .LBB0_20
; %bb.19:
	.loc	1 35 44                         ; indirect_matmul.py:35:44
	s_mul_i32 s4, s36, s6
	.loc	1 35 29                         ; indirect_matmul.py:35:29
	s_wait_alu depctr_sa_sdst(0)
	s_ashr_i32 s5, s4, 31
	s_wait_alu depctr_sa_sdst(0)
	s_lshl_b64 s[4:5], s[4:5], 1
	s_wait_alu depctr_sa_sdst(0)
	v_add_co_u32 v11, vcc_lo, v34, s4
	s_wait_alu depctr_va_vcc(0)
	v_add_co_ci_u32_e64 v12, null, s5, v35, vcc_lo
	.loc	1 35 20                         ; indirect_matmul.py:35:20
	global_load_u16 v9, v[11:12], off
.LBB0_20:
	.loc	1 0 20                          ; indirect_matmul.py:0:20
	v_dual_mov_b32 v11, 0 :: v_dual_mov_b32 v12, 0
	.loc	1 35 20                         ; indirect_matmul.py:35:20
	s_and_b32 vcc_lo, exec_lo, s2
	s_wait_alu depctr_sa_sdst(0)
	s_cbranch_vccnz .LBB0_22
; %bb.21:
	.loc	1 35 44                         ; indirect_matmul.py:35:44
	s_mul_i32 s4, s35, s6
	.loc	1 35 29                         ; indirect_matmul.py:35:29
	s_wait_alu depctr_sa_sdst(0)
	s_ashr_i32 s5, s4, 31
	s_wait_alu depctr_sa_sdst(0)
	s_lshl_b64 s[4:5], s[4:5], 1
	s_wait_alu depctr_sa_sdst(0)
	v_add_co_u32 v12, vcc_lo, v34, s4
	s_wait_alu depctr_va_vcc(0)
	v_add_co_ci_u32_e64 v13, null, s5, v35, vcc_lo
	.loc	1 35 20                         ; indirect_matmul.py:35:20
	global_load_u16 v12, v[12:13], off
.LBB0_22:
	s_and_b32 vcc_lo, exec_lo, s2
	s_wait_alu depctr_sa_sdst(0)
	s_cbranch_vccnz .LBB0_24
; %bb.23:
	.loc	1 35 44                         ; indirect_matmul.py:35:44
	s_mul_i32 s4, s34, s6
	.loc	1 35 29                         ; indirect_matmul.py:35:29
	s_wait_alu depctr_sa_sdst(0)
	s_ashr_i32 s5, s4, 31
	s_wait_alu depctr_sa_sdst(0)
	s_lshl_b64 s[4:5], s[4:5], 1
	s_wait_alu depctr_sa_sdst(0)
	v_add_co_u32 v13, vcc_lo, v34, s4
	s_wait_alu depctr_va_vcc(0)
	v_add_co_ci_u32_e64 v14, null, s5, v35, vcc_lo
	.loc	1 35 20                         ; indirect_matmul.py:35:20
	global_load_u16 v11, v[13:14], off
.LBB0_24:
	.loc	1 0 20                          ; indirect_matmul.py:0:20
	v_dual_mov_b32 v13, 0 :: v_dual_mov_b32 v14, 0
	.loc	1 35 20                         ; indirect_matmul.py:35:20
	s_and_b32 vcc_lo, exec_lo, s2
	s_wait_alu depctr_sa_sdst(0)
	s_cbranch_vccnz .LBB0_26
; %bb.25:
	.loc	1 35 44                         ; indirect_matmul.py:35:44
	s_mul_i32 s4, s33, s6
	.loc	1 35 29                         ; indirect_matmul.py:35:29
	s_wait_alu depctr_sa_sdst(0)
	s_ashr_i32 s5, s4, 31
	s_wait_alu depctr_sa_sdst(0)
	s_lshl_b64 s[4:5], s[4:5], 1
	s_wait_alu depctr_sa_sdst(0)
	v_add_co_u32 v14, vcc_lo, v34, s4
	s_wait_alu depctr_va_vcc(0)
	v_add_co_ci_u32_e64 v15, null, s5, v35, vcc_lo
	.loc	1 35 20                         ; indirect_matmul.py:35:20
	global_load_u16 v14, v[14:15], off
.LBB0_26:
	s_and_b32 vcc_lo, exec_lo, s2
	s_wait_alu depctr_sa_sdst(0)
	s_cbranch_vccnz .LBB0_28
; %bb.27:
	.loc	1 35 44                         ; indirect_matmul.py:35:44
	s_mul_i32 s4, s31, s6
	.loc	1 35 29                         ; indirect_matmul.py:35:29
	s_wait_alu depctr_sa_sdst(0)
	s_ashr_i32 s5, s4, 31
	s_wait_alu depctr_sa_sdst(0)
	s_lshl_b64 s[4:5], s[4:5], 1
	s_wait_alu depctr_sa_sdst(0)
	v_add_co_u32 v15, vcc_lo, v34, s4
	s_wait_alu depctr_va_vcc(0)
	v_add_co_ci_u32_e64 v16, null, s5, v35, vcc_lo
	.loc	1 35 20                         ; indirect_matmul.py:35:20
	global_load_u16 v13, v[15:16], off
.LBB0_28:
	.loc	1 0 20                          ; indirect_matmul.py:0:20
	v_dual_mov_b32 v15, 0 :: v_dual_mov_b32 v16, 0
	.loc	1 35 20                         ; indirect_matmul.py:35:20
	s_and_b32 vcc_lo, exec_lo, s2
	s_wait_alu depctr_sa_sdst(0)
	s_cbranch_vccnz .LBB0_30
; %bb.29:
	.loc	1 35 44                         ; indirect_matmul.py:35:44
	s_mul_i32 s4, s30, s6
	.loc	1 35 29                         ; indirect_matmul.py:35:29
	s_wait_alu depctr_sa_sdst(0)
	s_ashr_i32 s5, s4, 31
	s_wait_alu depctr_sa_sdst(0)
	s_lshl_b64 s[4:5], s[4:5], 1
	s_wait_alu depctr_sa_sdst(0)
	v_add_co_u32 v16, vcc_lo, v34, s4
	s_wait_alu depctr_va_vcc(0)
	v_add_co_ci_u32_e64 v17, null, s5, v35, vcc_lo
	.loc	1 35 20                         ; indirect_matmul.py:35:20
	global_load_u16 v16, v[16:17], off
.LBB0_30:
	s_and_b32 vcc_lo, exec_lo, s2
	s_wait_alu depctr_sa_sdst(0)
	s_cbranch_vccnz .LBB0_32
; %bb.31:
	.loc	1 35 44                         ; indirect_matmul.py:35:44
	s_mul_i32 s4, s29, s6
	.loc	1 35 29                         ; indirect_matmul.py:35:29
	s_wait_alu depctr_sa_sdst(0)
	s_ashr_i32 s5, s4, 31
	s_wait_alu depctr_sa_sdst(0)
	s_lshl_b64 s[4:5], s[4:5], 1
	s_wait_alu depctr_sa_sdst(0)
	v_add_co_u32 v17, vcc_lo, v34, s4
	s_wait_alu depctr_va_vcc(0)
	v_add_co_ci_u32_e64 v18, null, s5, v35, vcc_lo
	.loc	1 35 20                         ; indirect_matmul.py:35:20
	global_load_u16 v15, v[17:18], off
.LBB0_32:
	.loc	1 0 20                          ; indirect_matmul.py:0:20
	v_dual_mov_b32 v17, 0 :: v_dual_mov_b32 v18, 0
	.loc	1 35 20                         ; indirect_matmul.py:35:20
	s_and_b32 vcc_lo, exec_lo, s2
	s_wait_alu depctr_sa_sdst(0)
	s_cbranch_vccnz .LBB0_34
; %bb.33:
	.loc	1 35 44                         ; indirect_matmul.py:35:44
	s_mul_i32 s4, s28, s6
	.loc	1 35 29                         ; indirect_matmul.py:35:29
	s_wait_alu depctr_sa_sdst(0)
	s_ashr_i32 s5, s4, 31
	s_wait_alu depctr_sa_sdst(0)
	s_lshl_b64 s[4:5], s[4:5], 1
	s_wait_alu depctr_sa_sdst(0)
	v_add_co_u32 v18, vcc_lo, v34, s4
	s_wait_alu depctr_va_vcc(0)
	v_add_co_ci_u32_e64 v19, null, s5, v35, vcc_lo
	.loc	1 35 20                         ; indirect_matmul.py:35:20
	global_load_u16 v18, v[18:19], off
.LBB0_34:
	s_and_b32 vcc_lo, exec_lo, s2
	s_wait_alu depctr_sa_sdst(0)
	s_cbranch_vccnz .LBB0_36
; %bb.35:
	.loc	1 35 44                         ; indirect_matmul.py:35:44
	s_mul_i32 s4, s27, s6
	.loc	1 35 29                         ; indirect_matmul.py:35:29
	s_wait_alu depctr_sa_sdst(0)
	s_ashr_i32 s5, s4, 31
	s_wait_alu depctr_sa_sdst(0)
	s_lshl_b64 s[4:5], s[4:5], 1
	s_wait_alu depctr_sa_sdst(0)
	v_add_co_u32 v19, vcc_lo, v34, s4
	s_wait_alu depctr_va_vcc(0)
	v_add_co_ci_u32_e64 v20, null, s5, v35, vcc_lo
	.loc	1 35 20                         ; indirect_matmul.py:35:20
	global_load_u16 v17, v[19:20], off
.LBB0_36:
	.loc	1 0 20                          ; indirect_matmul.py:0:20
	v_dual_mov_b32 v19, 0 :: v_dual_mov_b32 v20, 0
	.loc	1 35 20                         ; indirect_matmul.py:35:20
	s_and_b32 vcc_lo, exec_lo, s2
	s_wait_alu depctr_sa_sdst(0)
	s_cbranch_vccnz .LBB0_38
; %bb.37:
	.loc	1 35 44                         ; indirect_matmul.py:35:44
	s_mul_i32 s4, s26, s6
	.loc	1 35 29                         ; indirect_matmul.py:35:29
	s_wait_alu depctr_sa_sdst(0)
	s_ashr_i32 s5, s4, 31
	s_wait_alu depctr_sa_sdst(0)
	s_lshl_b64 s[4:5], s[4:5], 1
	s_wait_alu depctr_sa_sdst(0)
	v_add_co_u32 v20, vcc_lo, v34, s4
	s_wait_alu depctr_va_vcc(0)
	v_add_co_ci_u32_e64 v21, null, s5, v35, vcc_lo
	.loc	1 35 20                         ; indirect_matmul.py:35:20
	global_load_u16 v20, v[20:21], off
.LBB0_38:
	s_and_b32 vcc_lo, exec_lo, s2
	s_wait_alu depctr_sa_sdst(0)
	s_cbranch_vccnz .LBB0_40
; %bb.39:
	.loc	1 35 44                         ; indirect_matmul.py:35:44
	s_mul_i32 s4, s25, s6
	.loc	1 35 29                         ; indirect_matmul.py:35:29
	s_wait_alu depctr_sa_sdst(0)
	s_ashr_i32 s5, s4, 31
	s_wait_alu depctr_sa_sdst(0)
	s_lshl_b64 s[4:5], s[4:5], 1
	s_wait_alu depctr_sa_sdst(0)
	v_add_co_u32 v21, vcc_lo, v34, s4
	s_wait_alu depctr_va_vcc(0)
	v_add_co_ci_u32_e64 v22, null, s5, v35, vcc_lo
	.loc	1 35 20                         ; indirect_matmul.py:35:20
	global_load_u16 v19, v[21:22], off
.LBB0_40:
	.loc	1 0 20                          ; indirect_matmul.py:0:20
	v_dual_mov_b32 v21, 0 :: v_dual_mov_b32 v22, 0
	.loc	1 35 20                         ; indirect_matmul.py:35:20
	s_and_b32 vcc_lo, exec_lo, s2
	s_wait_alu depctr_sa_sdst(0)
	s_cbranch_vccnz .LBB0_42
; %bb.41:
	.loc	1 35 44                         ; indirect_matmul.py:35:44
	s_mul_i32 s4, s24, s6
	.loc	1 35 29                         ; indirect_matmul.py:35:29
	s_wait_alu depctr_sa_sdst(0)
	s_ashr_i32 s5, s4, 31
	s_wait_alu depctr_sa_sdst(0)
	s_lshl_b64 s[4:5], s[4:5], 1
	s_wait_alu depctr_sa_sdst(0)
	v_add_co_u32 v22, vcc_lo, v34, s4
	s_wait_alu depctr_va_vcc(0)
	v_add_co_ci_u32_e64 v23, null, s5, v35, vcc_lo
	.loc	1 35 20                         ; indirect_matmul.py:35:20
	global_load_u16 v22, v[22:23], off
.LBB0_42:
	s_and_b32 vcc_lo, exec_lo, s2
	s_wait_alu depctr_sa_sdst(0)
	s_cbranch_vccnz .LBB0_44
; %bb.43:
	.loc	1 35 44                         ; indirect_matmul.py:35:44
	s_mul_i32 s4, s23, s6
	.loc	1 35 29                         ; indirect_matmul.py:35:29
	s_wait_alu depctr_sa_sdst(0)
	s_ashr_i32 s5, s4, 31
	s_wait_alu depctr_sa_sdst(0)
	s_lshl_b64 s[4:5], s[4:5], 1
	s_wait_alu depctr_sa_sdst(0)
	v_add_co_u32 v23, vcc_lo, v34, s4
	s_wait_alu depctr_va_vcc(0)
	v_add_co_ci_u32_e64 v24, null, s5, v35, vcc_lo
	.loc	1 35 20                         ; indirect_matmul.py:35:20
	global_load_u16 v21, v[23:24], off
.LBB0_44:
	.loc	1 0 20                          ; indirect_matmul.py:0:20
	v_dual_mov_b32 v23, 0 :: v_dual_mov_b32 v24, 0
	.loc	1 35 20                         ; indirect_matmul.py:35:20
	s_and_b32 vcc_lo, exec_lo, s2
	s_wait_alu depctr_sa_sdst(0)
	s_cbranch_vccnz .LBB0_46
; %bb.45:
	.loc	1 35 44                         ; indirect_matmul.py:35:44
	s_mul_i32 s4, s22, s6
	.loc	1 35 29                         ; indirect_matmul.py:35:29
	s_wait_alu depctr_sa_sdst(0)
	s_ashr_i32 s5, s4, 31
	s_wait_alu depctr_sa_sdst(0)
	s_lshl_b64 s[4:5], s[4:5], 1
	s_wait_alu depctr_sa_sdst(0)
	v_add_co_u32 v24, vcc_lo, v34, s4
	s_wait_alu depctr_va_vcc(0)
	v_add_co_ci_u32_e64 v25, null, s5, v35, vcc_lo
	.loc	1 35 20                         ; indirect_matmul.py:35:20
	global_load_u16 v24, v[24:25], off
.LBB0_46:
	s_and_b32 vcc_lo, exec_lo, s2
	s_wait_alu depctr_sa_sdst(0)
	s_cbranch_vccnz .LBB0_48
; %bb.47:
	.loc	1 35 44                         ; indirect_matmul.py:35:44
	s_mul_i32 s4, s21, s6
	.loc	1 35 29                         ; indirect_matmul.py:35:29
	s_wait_alu depctr_sa_sdst(0)
	s_ashr_i32 s5, s4, 31
	s_wait_alu depctr_sa_sdst(0)
	s_lshl_b64 s[4:5], s[4:5], 1
	s_wait_alu depctr_sa_sdst(0)
	v_add_co_u32 v25, vcc_lo, v34, s4
	s_wait_alu depctr_va_vcc(0)
	v_add_co_ci_u32_e64 v26, null, s5, v35, vcc_lo
	.loc	1 35 20                         ; indirect_matmul.py:35:20
	global_load_u16 v23, v[25:26], off
.LBB0_48:
	.loc	1 0 20                          ; indirect_matmul.py:0:20
	v_dual_mov_b32 v25, 0 :: v_dual_mov_b32 v26, 0
	.loc	1 35 20                         ; indirect_matmul.py:35:20
	s_and_b32 vcc_lo, exec_lo, s2
	s_wait_alu depctr_sa_sdst(0)
	s_cbranch_vccnz .LBB0_50
; %bb.49:
	.loc	1 35 44                         ; indirect_matmul.py:35:44
	s_mul_i32 s4, s20, s6
	.loc	1 35 29                         ; indirect_matmul.py:35:29
	s_wait_alu depctr_sa_sdst(0)
	s_ashr_i32 s5, s4, 31
	s_wait_alu depctr_sa_sdst(0)
	s_lshl_b64 s[4:5], s[4:5], 1
	s_wait_alu depctr_sa_sdst(0)
	v_add_co_u32 v26, vcc_lo, v34, s4
	s_wait_alu depctr_va_vcc(0)
	v_add_co_ci_u32_e64 v27, null, s5, v35, vcc_lo
	.loc	1 35 20                         ; indirect_matmul.py:35:20
	global_load_u16 v26, v[26:27], off
.LBB0_50:
	s_and_b32 vcc_lo, exec_lo, s2
	s_wait_alu depctr_sa_sdst(0)
	s_cbranch_vccnz .LBB0_52
; %bb.51:
	.loc	1 35 44                         ; indirect_matmul.py:35:44
	s_mul_i32 s4, s19, s6
	.loc	1 35 29                         ; indirect_matmul.py:35:29
	s_wait_alu depctr_sa_sdst(0)
	s_ashr_i32 s5, s4, 31
	s_wait_alu depctr_sa_sdst(0)
	s_lshl_b64 s[4:5], s[4:5], 1
	s_wait_alu depctr_sa_sdst(0)
	v_add_co_u32 v27, vcc_lo, v34, s4
	s_wait_alu depctr_va_vcc(0)
	v_add_co_ci_u32_e64 v28, null, s5, v35, vcc_lo
	.loc	1 35 20                         ; indirect_matmul.py:35:20
	global_load_u16 v25, v[27:28], off
.LBB0_52:
	.loc	1 0 20                          ; indirect_matmul.py:0:20
	v_dual_mov_b32 v27, 0 :: v_dual_mov_b32 v28, 0
	.loc	1 35 20                         ; indirect_matmul.py:35:20
	s_and_b32 vcc_lo, exec_lo, s2
	s_wait_alu depctr_sa_sdst(0)
	s_cbranch_vccnz .LBB0_54
; %bb.53:
	.loc	1 35 44                         ; indirect_matmul.py:35:44
	s_mul_i32 s4, s18, s6
	.loc	1 35 29                         ; indirect_matmul.py:35:29
	s_wait_alu depctr_sa_sdst(0)
	s_ashr_i32 s5, s4, 31
	s_wait_alu depctr_sa_sdst(0)
	s_lshl_b64 s[4:5], s[4:5], 1
	s_wait_alu depctr_sa_sdst(0)
	v_add_co_u32 v28, vcc_lo, v34, s4
	s_wait_alu depctr_va_vcc(0)
	v_add_co_ci_u32_e64 v29, null, s5, v35, vcc_lo
	.loc	1 35 20                         ; indirect_matmul.py:35:20
	global_load_u16 v28, v[28:29], off
.LBB0_54:
	s_and_b32 vcc_lo, exec_lo, s2
	s_wait_alu depctr_sa_sdst(0)
	s_cbranch_vccnz .LBB0_56
; %bb.55:
	.loc	1 35 44                         ; indirect_matmul.py:35:44
	s_mul_i32 s4, s17, s6
	.loc	1 35 29                         ; indirect_matmul.py:35:29
	s_wait_alu depctr_sa_sdst(0)
	s_ashr_i32 s5, s4, 31
	s_wait_alu depctr_sa_sdst(0)
	s_lshl_b64 s[4:5], s[4:5], 1
	s_wait_alu depctr_sa_sdst(0)
	v_add_co_u32 v29, vcc_lo, v34, s4
	s_wait_alu depctr_va_vcc(0)
	v_add_co_ci_u32_e64 v30, null, s5, v35, vcc_lo
	.loc	1 35 20                         ; indirect_matmul.py:35:20
	global_load_u16 v27, v[29:30], off
.LBB0_56:
	.loc	1 0 20                          ; indirect_matmul.py:0:20
	v_dual_mov_b32 v29, 0 :: v_dual_mov_b32 v30, 0
	.loc	1 35 20                         ; indirect_matmul.py:35:20
	s_and_b32 vcc_lo, exec_lo, s2
	s_wait_alu depctr_sa_sdst(0)
	s_cbranch_vccnz .LBB0_58
; %bb.57:
	.loc	1 35 44                         ; indirect_matmul.py:35:44
	s_mul_i32 s4, s16, s6
	.loc	1 35 29                         ; indirect_matmul.py:35:29
	s_wait_alu depctr_sa_sdst(0)
	s_ashr_i32 s5, s4, 31
	s_wait_alu depctr_sa_sdst(0)
	s_lshl_b64 s[4:5], s[4:5], 1
	s_wait_alu depctr_sa_sdst(0)
	v_add_co_u32 v30, vcc_lo, v34, s4
	s_wait_alu depctr_va_vcc(0)
	v_add_co_ci_u32_e64 v31, null, s5, v35, vcc_lo
	.loc	1 35 20                         ; indirect_matmul.py:35:20
	global_load_u16 v30, v[30:31], off
.LBB0_58:
	s_and_b32 vcc_lo, exec_lo, s2
	s_wait_alu depctr_sa_sdst(0)
	s_cbranch_vccnz .LBB0_60
; %bb.59:
	.loc	1 35 44                         ; indirect_matmul.py:35:44
	s_mul_i32 s4, s15, s6
	.loc	1 35 29                         ; indirect_matmul.py:35:29
	s_wait_alu depctr_sa_sdst(0)
	s_ashr_i32 s5, s4, 31
	s_wait_alu depctr_sa_sdst(0)
	s_lshl_b64 s[4:5], s[4:5], 1
	s_wait_alu depctr_sa_sdst(0)
	v_add_co_u32 v31, vcc_lo, v34, s4
	s_wait_alu depctr_va_vcc(0)
	v_add_co_ci_u32_e64 v32, null, s5, v35, vcc_lo
	.loc	1 35 20                         ; indirect_matmul.py:35:20
	global_load_u16 v29, v[31:32], off
.LBB0_60:
	.loc	1 0 20                          ; indirect_matmul.py:0:20
	s_load_b64 s[4:5], s[0:1], 0x20
	v_dual_mov_b32 v31, 0 :: v_dual_mov_b32 v32, 0
	.loc	1 35 20                         ; indirect_matmul.py:35:20
	s_and_b32 vcc_lo, exec_lo, s2
	s_wait_alu depctr_sa_sdst(0)
	s_cbranch_vccnz .LBB0_62
; %bb.61:
	.loc	1 35 44                         ; indirect_matmul.py:35:44
	s_mul_i32 s46, s14, s6
	.loc	1 35 29                         ; indirect_matmul.py:35:29
	s_wait_alu depctr_sa_sdst(0)
	s_ashr_i32 s47, s46, 31
	s_wait_alu depctr_sa_sdst(0)
	s_lshl_b64 s[46:47], s[46:47], 1
	s_wait_alu depctr_sa_sdst(0)
	v_add_co_u32 v38, vcc_lo, v34, s46
	s_wait_alu depctr_va_vcc(0)
	v_add_co_ci_u32_e64 v39, null, s47, v35, vcc_lo
	.loc	1 35 20                         ; indirect_matmul.py:35:20
	global_load_u16 v32, v[38:39], off
.LBB0_62:
	s_and_b32 vcc_lo, exec_lo, s2
	s_wait_alu depctr_sa_sdst(0)
	s_cbranch_vccnz .LBB0_64
; %bb.63:
	.loc	1 35 44                         ; indirect_matmul.py:35:44
	s_mul_i32 s46, s3, s6
	.loc	1 35 29                         ; indirect_matmul.py:35:29
	s_wait_alu depctr_sa_sdst(0)
	s_ashr_i32 s47, s46, 31
	s_wait_alu depctr_sa_sdst(0)
	s_lshl_b64 s[46:47], s[46:47], 1
	s_wait_alu depctr_sa_sdst(0)
	v_add_co_u32 v38, vcc_lo, v34, s46
	s_wait_alu depctr_va_vcc(0)
	v_add_co_ci_u32_e64 v39, null, s47, v35, vcc_lo
	.loc	1 35 20                         ; indirect_matmul.py:35:20
	global_load_u16 v31, v[38:39], off
.LBB0_64:
	.loc	1 0 20                          ; indirect_matmul.py:0:20
	s_load_b32 s7, s[0:1], 0x28
	.loc	1 29 17 is_stmt 1               ; indirect_matmul.py:29:17
	s_wait_kmcnt 0x0
	v_add_co_u32 v44, s4, s4, v37
	v_dual_mov_b32 v36, 0 :: v_dual_mov_b32 v37, 0
	s_wait_alu depctr_va_sdst(0)
	v_add_co_ci_u32_e64 v45, null, s5, 0, s4
	.loc	1 36 20                         ; indirect_matmul.py:36:20
	s_and_b32 vcc_lo, exec_lo, s2
	s_wait_alu depctr_sa_sdst(0)
	s_cbranch_vccnz .LBB0_66
; %bb.65:
	.loc	1 0 20 is_stmt 0                ; indirect_matmul.py:0:20
	s_mul_i32 s4, s45, s7
	s_wait_alu depctr_sa_sdst(0)
	s_ashr_i32 s5, s4, 31
	s_wait_alu depctr_sa_sdst(0)
	s_lshl_b64 s[4:5], s[4:5], 1
	s_wait_alu depctr_sa_sdst(0)
	v_add_co_u32 v37, vcc_lo, v44, s4
	s_wait_alu depctr_va_vcc(0)
	v_add_co_ci_u32_e64 v38, null, s5, v45, vcc_lo
	.loc	1 36 20                         ; indirect_matmul.py:36:20
	global_load_u16 v37, v[37:38], off
.LBB0_66:
	s_and_b32 vcc_lo, exec_lo, s2
	s_wait_alu depctr_sa_sdst(0)
	s_cbranch_vccnz .LBB0_68
; %bb.67:
	.loc	1 36 44                         ; indirect_matmul.py:36:44
	s_mul_i32 s4, s44, s7
	.loc	1 36 29                         ; indirect_matmul.py:36:29
	s_wait_alu depctr_sa_sdst(0)
	s_ashr_i32 s5, s4, 31
	s_wait_alu depctr_sa_sdst(0)
	s_lshl_b64 s[4:5], s[4:5], 1
	s_wait_alu depctr_sa_sdst(0)
	v_add_co_u32 v38, vcc_lo, v44, s4
	s_wait_alu depctr_va_vcc(0)
	v_add_co_ci_u32_e64 v39, null, s5, v45, vcc_lo
	.loc	1 36 20                         ; indirect_matmul.py:36:20
	global_load_u16 v36, v[38:39], off
.LBB0_68:
	.loc	1 0 20                          ; indirect_matmul.py:0:20
	v_dual_mov_b32 v38, 0 :: v_dual_mov_b32 v39, 0
	.loc	1 36 20                         ; indirect_matmul.py:36:20
	s_and_b32 vcc_lo, exec_lo, s2
	s_wait_alu depctr_sa_sdst(0)
	s_cbranch_vccnz .LBB0_70
; %bb.69:
	.loc	1 36 44                         ; indirect_matmul.py:36:44
	s_mul_i32 s4, s43, s7
	.loc	1 36 29                         ; indirect_matmul.py:36:29
	s_wait_alu depctr_sa_sdst(0)
	s_ashr_i32 s5, s4, 31
	s_wait_alu depctr_sa_sdst(0)
	s_lshl_b64 s[4:5], s[4:5], 1
	s_wait_alu depctr_sa_sdst(0)
	v_add_co_u32 v39, vcc_lo, v44, s4
	s_wait_alu depctr_va_vcc(0)
	v_add_co_ci_u32_e64 v40, null, s5, v45, vcc_lo
	.loc	1 36 20                         ; indirect_matmul.py:36:20
	global_load_u16 v39, v[39:40], off
.LBB0_70:
	s_and_b32 vcc_lo, exec_lo, s2
	s_wait_alu depctr_sa_sdst(0)
	s_cbranch_vccnz .LBB0_72
; %bb.71:
	.loc	1 36 44                         ; indirect_matmul.py:36:44
	s_mul_i32 s4, s42, s7
	.loc	1 36 29                         ; indirect_matmul.py:36:29
	s_wait_alu depctr_sa_sdst(0)
	s_ashr_i32 s5, s4, 31
	s_wait_alu depctr_sa_sdst(0)
	s_lshl_b64 s[4:5], s[4:5], 1
	s_wait_alu depctr_sa_sdst(0)
	v_add_co_u32 v40, vcc_lo, v44, s4
	s_wait_alu depctr_va_vcc(0)
	v_add_co_ci_u32_e64 v41, null, s5, v45, vcc_lo
	.loc	1 36 20                         ; indirect_matmul.py:36:20
	global_load_u16 v38, v[40:41], off
.LBB0_72:
	.loc	1 0 20                          ; indirect_matmul.py:0:20
	v_dual_mov_b32 v40, 0 :: v_dual_mov_b32 v41, 0
	.loc	1 36 20                         ; indirect_matmul.py:36:20
	s_and_b32 vcc_lo, exec_lo, s2
	s_wait_alu depctr_sa_sdst(0)
	s_cbranch_vccnz .LBB0_74
; %bb.73:
	.loc	1 36 44                         ; indirect_matmul.py:36:44
	s_mul_i32 s4, s41, s7
	.loc	1 36 29                         ; indirect_matmul.py:36:29
	s_wait_alu depctr_sa_sdst(0)
	s_ashr_i32 s5, s4, 31
	s_wait_alu depctr_sa_sdst(0)
	s_lshl_b64 s[4:5], s[4:5], 1
	s_wait_alu depctr_sa_sdst(0)
	v_add_co_u32 v41, vcc_lo, v44, s4
	s_wait_alu depctr_va_vcc(0)
	v_add_co_ci_u32_e64 v42, null, s5, v45, vcc_lo
	.loc	1 36 20                         ; indirect_matmul.py:36:20
	global_load_u16 v41, v[41:42], off
.LBB0_74:
	;; [unrolled: 39-line block ×15, first 2 shown]
	s_and_b32 vcc_lo, exec_lo, s2
	s_wait_alu depctr_sa_sdst(0)
	s_cbranch_vccnz .LBB0_128
; %bb.127:
	.loc	1 36 44                         ; indirect_matmul.py:36:44
	s_mul_i32 s2, s3, s7
	.loc	1 36 29                         ; indirect_matmul.py:36:29
	s_wait_alu depctr_sa_sdst(0)
	s_ashr_i32 s3, s2, 31
	s_wait_alu depctr_sa_sdst(0)
	s_lshl_b64 s[2:3], s[2:3], 1
	s_wait_alu depctr_sa_sdst(0)
	v_add_co_u32 v71, vcc_lo, v44, s2
	s_wait_alu depctr_va_vcc(0)
	v_add_co_ci_u32_e64 v72, null, s3, v45, vcc_lo
	.loc	1 36 20                         ; indirect_matmul.py:36:20
	global_load_u16 v69, v[71:72], off
.LBB0_128:
	.loc	1 35 20 is_stmt 1               ; indirect_matmul.py:35:20
	v_lshlrev_b32_e32 v60, 1, v33
	.loc	1 32 25                         ; indirect_matmul.py:32:25
	s_sub_co_i32 s14, s10, 64
	.loc	1 35 20                         ; indirect_matmul.py:35:20
	s_mov_b32 s4, 0
	.loc	1 32 25                         ; indirect_matmul.py:32:25
	s_wait_alu depctr_sa_sdst(0)
	s_cmp_gt_i32 s14, 0
	.loc	1 35 20                         ; indirect_matmul.py:35:20
	v_and_b32_e32 v60, 0xfe, v60
	s_delay_alu instid0(VALU_DEP_1)
	v_add_nc_u32_e32 v60, 0, v60
	s_wait_loadcnt 0x0
	ds_store_b16 v60, v2
	ds_store_b16 v60, v1 offset:256
	ds_store_b16 v60, v4 offset:512
	;; [unrolled: 1-line block ×15, first 2 shown]
	v_lshlrev_b32_e32 v1, 6, v0
	ds_store_b16 v60, v18 offset:4096
	ds_store_b16 v60, v17 offset:4352
	;; [unrolled: 1-line block ×16, first 2 shown]
	.loc	1 32 25                         ; indirect_matmul.py:32:25
	s_cbranch_scc1 .LBB0_131
; %bb.129:                              ; %.._crit_edge_crit_edge
	.loc	1 35 20                         ; indirect_matmul.py:35:20
	s_and_b32 s2, s13, 32
	s_wait_alu depctr_sa_sdst(0)
	v_dual_mov_b32 v72, s2 :: v_dual_and_b32 v71, 0x400, v1
	s_load_b64 s[2:3], s[0:1], 0x0
	v_mov_b32_e32 v8, 0
	s_and_not1_b32 vcc_lo, exec_lo, s4
	s_wait_alu depctr_sa_sdst(0)
	s_cbranch_vccz .LBB0_132
; %bb.130:
	.loc	1 0 20 is_stmt 0                ; indirect_matmul.py:0:20
	s_delay_alu instid0(VALU_DEP_1)
	v_dual_mov_b32 v7, v8 :: v_dual_mov_b32 v6, v8
	v_dual_mov_b32 v5, v8 :: v_dual_mov_b32 v4, v8
	;; [unrolled: 1-line block ×15, first 2 shown]
	v_mov_b32_e32 v25, v8
	s_branch .LBB0_135
.LBB0_131:
                                        ; implicit-def: $vgpr71
                                        ; implicit-def: $vgpr72
	s_load_b64 s[2:3], s[0:1], 0x0
	v_mov_b32_e32 v8, 0
.LBB0_132:                              ; %.lr.ph
	v_dual_mov_b32 v25, 0 :: v_dual_lshlrev_b32 v2, 1, v0
	v_dual_mov_b32 v72, 0 :: v_dual_and_b32 v71, 0x400, v1
	s_and_b32 s15, s13, 32
	s_delay_alu instid0(VALU_DEP_2) | instskip(SKIP_1) | instid1(VALU_DEP_2)
	v_and_b32_e32 v1, 30, v2
	s_lshl_b32 s4, s11, 4
	v_dual_mov_b32 v27, v72 :: v_dual_add_nc_u32 v2, 0, v71
	s_mov_b32 s13, 0
	v_mov_b32_e32 v26, v72
	v_dual_mov_b32 v28, v72 :: v_dual_mov_b32 v29, v72
	s_wait_alu depctr_sa_sdst(0)
	v_add3_u32 v73, v2, s15, v1
	v_add3_u32 v74, v2, s4, v1
	v_dual_mov_b32 v30, v72 :: v_dual_mov_b32 v31, v72
	v_dual_mov_b32 v32, v72 :: v_dual_mov_b32 v17, 0
	;; [unrolled: 1-line block ×13, first 2 shown]
	v_mov_b32_e32 v8, v72
	.loc	1 32 25 is_stmt 1               ; indirect_matmul.py:32:25
	s_add_nc_u64 s[4:5], s[8:9], s[12:13]
	s_wait_alu depctr_sa_sdst(0)
	s_add_nc_u64 s[4:5], s[4:5], 0x1f8
.LBB0_133:                              ; =>This Inner Loop Header: Depth=1
	.loc	1 33 22                         ; indirect_matmul.py:33:22
	s_clause 0x1f
	global_load_b32 v75, v72, s[4:5] offset:-248
	global_load_b32 v76, v72, s[4:5] offset:-240
	;; [unrolled: 1-line block ×31, first 2 shown]
	global_load_b32 v138, v72, s[4:5]
	.loc	1 32 25                         ; indirect_matmul.py:32:25
	s_add_co_i32 s13, s13, 64
	s_wait_alu depctr_sa_sdst(0)
	s_add_nc_u64 s[4:5], s[4:5], 0x100
	s_cmp_lt_i32 s13, s14
	.loc	1 35 44                         ; indirect_matmul.py:35:44
	s_wait_loadcnt 0x1f
	v_mul_lo_u32 v83, v75, s6
	s_wait_loadcnt 0x1e
	v_mul_lo_u32 v85, v76, s6
	;; [unrolled: 2-line block ×8, first 2 shown]
	.loc	1 35 29 is_stmt 0               ; indirect_matmul.py:35:29
	v_ashrrev_i32_e32 v84, 31, v83
	v_ashrrev_i32_e32 v86, 31, v85
	;; [unrolled: 1-line block ×4, first 2 shown]
	.loc	1 35 44                         ; indirect_matmul.py:35:44
	s_wait_loadcnt 0x17
	v_mul_lo_u32 v99, v102, s6
	.loc	1 35 29                         ; indirect_matmul.py:35:29
	v_lshlrev_b64_e32 v[83:84], 1, v[83:84]
	v_lshlrev_b64_e32 v[85:86], 1, v[85:86]
	v_ashrrev_i32_e32 v92, 31, v91
	v_lshlrev_b64_e32 v[87:88], 1, v[87:88]
	.loc	1 35 44                         ; indirect_matmul.py:35:44
	s_wait_loadcnt 0x16
	v_mul_lo_u32 v110, v103, s6
	.loc	1 35 29                         ; indirect_matmul.py:35:29
	v_ashrrev_i32_e32 v94, 31, v93
	v_lshlrev_b64_e32 v[89:90], 1, v[89:90]
	v_add_co_u32 v83, vcc_lo, v34, v83
	.loc	1 35 44                         ; indirect_matmul.py:35:44
	s_wait_loadcnt 0x15
	v_mul_lo_u32 v112, v104, s6
	.loc	1 35 29                         ; indirect_matmul.py:35:29
	v_ashrrev_i32_e32 v96, 31, v95
	v_lshlrev_b64_e32 v[91:92], 1, v[91:92]
	s_wait_alu depctr_va_vcc(0)
	v_add_co_ci_u32_e64 v84, null, v35, v84, vcc_lo
	v_add_co_u32 v85, vcc_lo, v34, v85
	.loc	1 35 44                         ; indirect_matmul.py:35:44
	s_wait_loadcnt 0x14
	v_mul_lo_u32 v114, v105, s6
	.loc	1 35 29                         ; indirect_matmul.py:35:29
	v_ashrrev_i32_e32 v98, 31, v97
	v_lshlrev_b64_e32 v[93:94], 1, v[93:94]
	s_wait_alu depctr_va_vcc(0)
	v_add_co_ci_u32_e64 v86, null, v35, v86, vcc_lo
	;; [unrolled: 9-line block ×22, first 2 shown]
	v_add_co_u32 v153, vcc_lo, v34, v153
	v_ashrrev_i32_e32 v166, 31, v165
	v_lshlrev_b64_e32 v[161:162], 1, v[161:162]
	s_wait_alu depctr_va_vcc(0)
	v_add_co_ci_u32_e64 v154, null, v35, v154, vcc_lo
	v_add_co_u32 v155, vcc_lo, v34, v155
	v_ashrrev_i32_e32 v168, 31, v167
	v_lshlrev_b64_e32 v[163:164], 1, v[163:164]
	s_wait_alu depctr_va_vcc(0)
	v_add_co_ci_u32_e64 v156, null, v35, v156, vcc_lo
	v_add_co_u32 v157, vcc_lo, v34, v157
	v_ashrrev_i32_e32 v170, 31, v169
	v_lshlrev_b64_e32 v[165:166], 1, v[165:166]
	s_wait_alu depctr_va_vcc(0)
	v_add_co_ci_u32_e64 v158, null, v35, v158, vcc_lo
	v_add_co_u32 v159, vcc_lo, v34, v159
	v_ashrrev_i32_e32 v172, 31, v171
	v_lshlrev_b64_e32 v[167:168], 1, v[167:168]
	s_wait_alu depctr_va_vcc(0)
	v_add_co_ci_u32_e64 v160, null, v35, v160, vcc_lo
	v_add_co_u32 v161, vcc_lo, v34, v161
	v_lshlrev_b64_e32 v[169:170], 1, v[169:170]
	s_wait_alu depctr_va_vcc(0)
	v_add_co_ci_u32_e64 v162, null, v35, v162, vcc_lo
	v_add_co_u32 v163, vcc_lo, v34, v163
	v_lshlrev_b64_e32 v[171:172], 1, v[171:172]
	s_wait_alu depctr_va_vcc(0)
	v_add_co_ci_u32_e64 v164, null, v35, v164, vcc_lo
	v_add_co_u32 v165, vcc_lo, v34, v165
	s_wait_alu depctr_va_vcc(0)
	v_add_co_ci_u32_e64 v166, null, v35, v166, vcc_lo
	v_add_co_u32 v167, vcc_lo, v34, v167
	;; [unrolled: 3-line block ×4, first 2 shown]
	s_wait_alu depctr_va_vcc(0)
	v_add_co_ci_u32_e64 v172, null, v35, v172, vcc_lo
	.loc	1 35 20                         ; indirect_matmul.py:35:20
	s_clause 0x1f
	global_load_u16 v83, v[83:84], off
	global_load_u16 v84, v[85:86], off
	;; [unrolled: 1-line block ×32, first 2 shown]
	v_dual_mov_b32 v170, v37 :: v_dual_mov_b32 v169, v36
	.loc	1 36 44 is_stmt 1               ; indirect_matmul.py:36:44
	v_mul_lo_u32 v36, v75, s7
	v_dual_mov_b32 v168, v39 :: v_dual_mov_b32 v167, v38
	v_mul_lo_u32 v38, v76, s7
	v_dual_mov_b32 v166, v41 :: v_dual_mov_b32 v165, v40
	;; [unrolled: 2-line block ×4, first 2 shown]
	v_mul_lo_u32 v46, v79, s7
	.loc	1 36 29 is_stmt 0               ; indirect_matmul.py:36:29
	v_ashrrev_i32_e32 v37, 31, v36
	v_dual_mov_b32 v160, v49 :: v_dual_mov_b32 v159, v48
	.loc	1 36 44                         ; indirect_matmul.py:36:44
	v_mul_lo_u32 v48, v80, s7
	.loc	1 36 29                         ; indirect_matmul.py:36:29
	v_ashrrev_i32_e32 v39, 31, v38
	v_dual_mov_b32 v158, v51 :: v_dual_mov_b32 v157, v50
	.loc	1 36 44                         ; indirect_matmul.py:36:44
	v_mul_lo_u32 v50, v81, s7
	.loc	1 36 29                         ; indirect_matmul.py:36:29
	v_ashrrev_i32_e32 v41, 31, v40
	v_lshlrev_b64_e32 v[36:37], 1, v[36:37]
	v_dual_mov_b32 v156, v53 :: v_dual_mov_b32 v155, v52
	.loc	1 36 44                         ; indirect_matmul.py:36:44
	v_mul_lo_u32 v52, v82, s7
	.loc	1 36 29                         ; indirect_matmul.py:36:29
	v_ashrrev_i32_e32 v43, 31, v42
	v_lshlrev_b64_e32 v[38:39], 1, v[38:39]
	;; [unrolled: 6-line block ×4, first 2 shown]
	v_add_co_u32 v36, vcc_lo, v44, v36
	v_dual_mov_b32 v150, v59 :: v_dual_mov_b32 v149, v58
	.loc	1 36 44                         ; indirect_matmul.py:36:44
	v_mul_lo_u32 v58, v104, s7
	.loc	1 36 29                         ; indirect_matmul.py:36:29
	v_ashrrev_i32_e32 v51, 31, v50
	v_lshlrev_b64_e32 v[46:47], 1, v[46:47]
	s_wait_alu depctr_va_vcc(0)
	v_add_co_ci_u32_e64 v37, null, v45, v37, vcc_lo
	v_add_co_u32 v38, vcc_lo, v44, v38
	v_dual_mov_b32 v148, v62 :: v_dual_mov_b32 v147, v61
	.loc	1 36 44                         ; indirect_matmul.py:36:44
	v_mul_lo_u32 v61, v105, s7
	.loc	1 36 29                         ; indirect_matmul.py:36:29
	v_ashrrev_i32_e32 v53, 31, v52
	v_lshlrev_b64_e32 v[48:49], 1, v[48:49]
	s_wait_alu depctr_va_vcc(0)
	v_add_co_ci_u32_e64 v39, null, v45, v39, vcc_lo
	;; [unrolled: 9-line block ×6, first 2 shown]
	v_add_co_u32 v50, vcc_lo, v44, v50
	.loc	1 36 44                         ; indirect_matmul.py:36:44
	v_mul_lo_u32 v75, v123, s7
	.loc	1 36 29                         ; indirect_matmul.py:36:29
	v_ashrrev_i32_e32 v64, 31, v63
	v_lshlrev_b64_e32 v[58:59], 1, v[58:59]
	s_wait_alu depctr_va_vcc(0)
	v_add_co_ci_u32_e64 v51, null, v45, v51, vcc_lo
	v_add_co_u32 v52, vcc_lo, v44, v52
	.loc	1 36 44                         ; indirect_matmul.py:36:44
	v_mul_lo_u32 v77, v124, s7
	.loc	1 36 29                         ; indirect_matmul.py:36:29
	v_ashrrev_i32_e32 v66, 31, v65
	v_lshlrev_b64_e32 v[61:62], 1, v[61:62]
	s_wait_alu depctr_va_vcc(0)
	v_add_co_ci_u32_e64 v53, null, v45, v53, vcc_lo
	;; [unrolled: 8-line block ×16, first 2 shown]
	v_add_co_u32 v106, vcc_lo, v44, v106
	v_ashrrev_i32_e32 v132, 31, v131
	v_lshlrev_b64_e32 v[127:128], 1, v[127:128]
	s_wait_alu depctr_va_vcc(0)
	v_add_co_ci_u32_e64 v107, null, v45, v107, vcc_lo
	v_add_co_u32 v108, vcc_lo, v44, v108
	v_ashrrev_i32_e32 v134, 31, v133
	v_lshlrev_b64_e32 v[129:130], 1, v[129:130]
	s_wait_alu depctr_va_vcc(0)
	v_add_co_ci_u32_e64 v109, null, v45, v109, vcc_lo
	;; [unrolled: 5-line block ×4, first 2 shown]
	v_add_co_u32 v127, vcc_lo, v44, v127
	v_lshlrev_b64_e32 v[135:136], 1, v[135:136]
	s_wait_alu depctr_va_vcc(0)
	v_add_co_ci_u32_e64 v128, null, v45, v128, vcc_lo
	v_add_co_u32 v129, vcc_lo, v44, v129
	v_lshlrev_b64_e32 v[137:138], 1, v[137:138]
	s_wait_alu depctr_va_vcc(0)
	v_add_co_ci_u32_e64 v130, null, v45, v130, vcc_lo
	v_add_co_u32 v131, vcc_lo, v44, v131
	s_wait_alu depctr_va_vcc(0)
	v_add_co_ci_u32_e64 v132, null, v45, v132, vcc_lo
	v_add_co_u32 v133, vcc_lo, v44, v133
	;; [unrolled: 3-line block ×4, first 2 shown]
	s_wait_alu depctr_va_vcc(0)
	v_add_co_ci_u32_e64 v138, null, v45, v138, vcc_lo
	.loc	1 35 20 is_stmt 1               ; indirect_matmul.py:35:20
	s_wait_loadcnt_dscnt 0x0
	s_barrier_signal -1
	s_barrier_wait -1
	global_inv scope:SCOPE_SE
	.loc	1 36 20                         ; indirect_matmul.py:36:20
	s_clause 0x1f
	global_load_u16 v37, v[36:37], off
	global_load_u16 v36, v[38:39], off
	;; [unrolled: 1-line block ×32, first 2 shown]
	.loc	1 35 20                         ; indirect_matmul.py:35:20
	ds_load_u16 v77, v73 offset:512
	ds_load_u16 v78, v73 offset:768
	;; [unrolled: 1-line block ×29, first 2 shown]
	ds_load_u16 v75, v73
	s_wait_dscnt 0x17
	ds_load_u16_d16_hi v79, v73 offset:2176
	s_wait_dscnt 0x17
	ds_load_u16_d16_hi v80, v73 offset:2432
	;; [unrolled: 2-line block ×3, first 2 shown]
	ds_load_u16 v76, v73 offset:256
	ds_load_u16 v106, v73 offset:64
	ds_load_u16_d16_hi v77, v73 offset:640
	ds_load_u16_d16_hi v78, v73 offset:896
	;; [unrolled: 1-line block ×6, first 2 shown]
	s_wait_dscnt 0x17
	ds_load_u16_d16_hi v123, v73 offset:4224
	s_wait_dscnt 0x14
	ds_load_u16_d16_hi v105, v73 offset:3008
	ds_load_u16_d16_hi v104, v73 offset:2752
	;; [unrolled: 1-line block ×8, first 2 shown]
	s_wait_dscnt 0x17
	ds_load_u16_d16_hi v138, v73 offset:7104
	ds_load_u16_d16_hi v131, v73 offset:6272
	;; [unrolled: 1-line block ×7, first 2 shown]
	s_wait_dscnt 0x1d
	ds_load_u16_d16_hi v137, v73 offset:6848
	s_wait_dscnt 0x1d
	ds_load_u16_d16_hi v136, v73 offset:6592
	;; [unrolled: 2-line block ×5, first 2 shown]
	ds_load_u16_d16_hi v108, v73 offset:704
	ds_load_u16_d16_hi v107, v73 offset:448
	.loc	1 38 21                         ; indirect_matmul.py:38:21
	ds_store_b16 v60, v170 offset:8192
	ds_store_b16 v60, v169 offset:8448
	ds_store_b16 v60, v168 offset:8704
	ds_store_b16 v60, v167 offset:8960
	ds_store_b16 v60, v166 offset:9216
	ds_store_b16 v60, v165 offset:9472
	ds_store_b16 v60, v164 offset:9728
	ds_store_b16 v60, v163 offset:9984
	ds_store_b16 v60, v162 offset:10240
	ds_store_b16 v60, v161 offset:10496
	ds_store_b16 v60, v160 offset:10752
	ds_store_b16 v60, v159 offset:11008
	ds_store_b16 v60, v158 offset:11264
	ds_store_b16 v60, v157 offset:11520
	ds_store_b16 v60, v156 offset:11776
	ds_store_b16 v60, v155 offset:12032
	ds_store_b16 v60, v154 offset:12288
	ds_store_b16 v60, v153 offset:12544
	ds_store_b16 v60, v152 offset:12800
	ds_store_b16 v60, v151 offset:13056
	ds_store_b16 v60, v150 offset:13312
	ds_store_b16 v60, v149 offset:13568
	ds_store_b16 v60, v148 offset:13824
	ds_store_b16 v60, v147 offset:14080
	ds_store_b16 v60, v146 offset:14336
	ds_store_b16 v60, v145 offset:14592
	ds_store_b16 v60, v144 offset:14848
	ds_store_b16 v60, v143 offset:15104
	ds_store_b16 v60, v142 offset:15360
	ds_store_b16 v60, v141 offset:15616
	ds_store_b16 v60, v140 offset:15872
	ds_store_b16 v60, v139 offset:16128
	s_wait_loadcnt_dscnt 0x0
	s_barrier_signal -1
	s_barrier_wait -1
	global_inv scope:SCOPE_SE
	ds_load_u16 v140, v74 offset:8448
	ds_load_u16 v141, v74 offset:8704
	;; [unrolled: 1-line block ×30, first 2 shown]
	.loc	1 35 20                         ; indirect_matmul.py:35:20
	ds_store_b16 v60, v83
	ds_store_b16 v60, v84 offset:256
	ds_store_b16 v60, v85 offset:512
	ds_store_b16 v60, v86 offset:768
	ds_store_b16 v60, v87 offset:1024
	ds_store_b16 v60, v88 offset:1280
	ds_store_b16 v60, v89 offset:1536
	ds_store_b16 v60, v90 offset:1792
	ds_store_b16 v60, v91 offset:2048
	ds_store_b16 v60, v92 offset:2304
	ds_store_b16 v60, v93 offset:2560
	ds_store_b16 v60, v94 offset:2816
	ds_store_b16 v60, v95 offset:3072
	ds_store_b16 v60, v96 offset:3328
	ds_store_b16 v60, v97 offset:3584
	ds_store_b16 v60, v98 offset:3840
	ds_store_b16 v60, v99 offset:4096
	ds_store_b16 v60, v100 offset:4352
	ds_store_b16 v60, v101 offset:4608
	ds_store_b16 v60, v122 offset:4864
	.loc	1 38 21                         ; indirect_matmul.py:38:21
	ds_load_u16 v139, v74 offset:8192
	s_wait_dscnt 0x28
	ds_load_u16_d16_hi v154, v74 offset:9152
	ds_load_u16_d16_hi v143, v74 offset:10368
	;; [unrolled: 1-line block ×3, first 2 shown]
	ds_load_u16 v151, v74 offset:8256
	.loc	1 35 20                         ; indirect_matmul.py:35:20
	ds_store_b16 v60, v118 offset:5120
	ds_store_b16 v60, v119 offset:5376
	;; [unrolled: 1-line block ×4, first 2 shown]
	.loc	1 38 21                         ; indirect_matmul.py:38:21
	ds_load_u16_d16_hi v140, v74 offset:8576
	ds_load_u16_d16_hi v141, v74 offset:8832
	;; [unrolled: 1-line block ×8, first 2 shown]
	s_wait_dscnt 0x32
	ds_load_u16_d16_hi v155, v74 offset:12416
	s_wait_dscnt 0x2f
	ds_load_u16_d16_hi v150, v74 offset:11200
	ds_load_u16_d16_hi v149, v74 offset:10944
	;; [unrolled: 1-line block ×3, first 2 shown]
	s_wait_dscnt 0x14
	ds_load_u16_d16_hi v139, v74 offset:8320
	s_wait_dscnt 0x11
	ds_load_u16_d16_hi v151, v74 offset:8384
	ds_load_u16_d16_hi v152, v74 offset:8640
	;; [unrolled: 1-line block ×16, first 2 shown]
	.loc	1 35 20                         ; indirect_matmul.py:35:20
	ds_store_b16 v60, v117 offset:6144
	ds_store_b16 v60, v116 offset:6400
	;; [unrolled: 1-line block ×4, first 2 shown]
	.loc	1 38 26                         ; indirect_matmul.py:38:26
	s_wait_dscnt 0x14
	v_wmma_f32_16x16x16_f16 v[25:32], v[75:78], v[139:142], v[25:32]
	v_wmma_f32_16x16x16_f16 v[17:24], v[106:109], v[139:142], v[17:24]
	s_wait_dscnt 0x12
	v_wmma_f32_16x16x16_f16 v[9:16], v[75:78], v[151:154], v[9:16]
	v_wmma_f32_16x16x16_f16 v[1:8], v[106:109], v[151:154], v[1:8]
	.loc	1 35 20                         ; indirect_matmul.py:35:20
	ds_store_b16 v60, v110 offset:7168
	ds_store_b16 v60, v111 offset:7424
	;; [unrolled: 1-line block ×4, first 2 shown]
	.loc	1 38 26                         ; indirect_matmul.py:38:26
	v_wmma_f32_16x16x16_f16 v[25:32], v[79:82], v[143:146], v[25:32]
	v_wmma_f32_16x16x16_f16 v[17:24], v[102:105], v[143:146], v[17:24]
	;; [unrolled: 1-line block ×4, first 2 shown]
	s_wait_dscnt 0x11
	v_wmma_f32_16x16x16_f16 v[25:32], v[123:126], v[155:158], v[25:32]
	v_wmma_f32_16x16x16_f16 v[17:24], v[127:130], v[155:158], v[17:24]
	s_wait_dscnt 0xe
	v_wmma_f32_16x16x16_f16 v[9:16], v[123:126], v[159:162], v[9:16]
	v_wmma_f32_16x16x16_f16 v[1:8], v[127:130], v[159:162], v[1:8]
	;; [unrolled: 3-line block ×4, first 2 shown]
	.loc	1 32 25                         ; indirect_matmul.py:32:25
	s_cbranch_scc1 .LBB0_133
; %bb.134:                              ; %Flow
	.loc	1 0 25 is_stmt 0                ; indirect_matmul.py:0:25
	v_mov_b32_e32 v72, s15
.LBB0_135:                              ; %Flow286
	.loc	1 35 20 is_stmt 1               ; indirect_matmul.py:35:20
	s_wait_loadcnt_dscnt 0x0
	s_barrier_signal -1
	v_and_b32_e32 v0, 15, v0
	v_add_nc_u32_e32 v131, 0, v71
	s_load_b32 s0, s[0:1], 0x8
	.loc	1 32 25                         ; indirect_matmul.py:32:25
	s_add_co_i32 s1, s10, 63
	s_delay_alu instid0(VALU_DEP_2) | instskip(SKIP_1) | instid1(VALU_DEP_1)
	.loc	1 35 20                         ; indirect_matmul.py:35:20
	v_lshlrev_b32_e32 v132, 1, v0
	.loc	1 32 25                         ; indirect_matmul.py:32:25
	s_cmp_lt_i32 s1, 64
	.loc	1 35 20                         ; indirect_matmul.py:35:20
	v_add3_u32 v74, v131, v72, v132
	s_barrier_wait -1
	global_inv scope:SCOPE_SE
	ds_load_u16 v117, v74
	ds_load_u16 v118, v74 offset:128
	ds_load_u16 v119, v74 offset:256
	;; [unrolled: 1-line block ×63, first 2 shown]
	.loc	1 38 21                         ; indirect_matmul.py:38:21
	ds_store_b16 v60, v37 offset:8192
	ds_store_b16 v60, v36 offset:8448
	;; [unrolled: 1-line block ×32, first 2 shown]
	s_wait_loadcnt_dscnt 0x0
	s_barrier_signal -1
	s_barrier_wait -1
	global_inv scope:SCOPE_SE
	s_cbranch_scc1 .LBB0_137
; %bb.136:
	s_lshl_b32 s1, s11, 4
	.loc	1 38 26 is_stmt 0               ; indirect_matmul.py:38:26
	v_perm_b32 v47, v120, v119, 0x5040100
	.loc	1 38 21                         ; indirect_matmul.py:38:21
	v_add3_u32 v70, v131, s1, v132
	.loc	1 38 26                         ; indirect_matmul.py:38:26
	v_perm_b32 v46, v118, v117, 0x5040100
	v_perm_b32 v51, v122, v121, 0x5040100
	;; [unrolled: 1-line block ×4, first 2 shown]
	.loc	1 38 21                         ; indirect_matmul.py:38:21
	ds_load_u16 v39, v70 offset:9024
	ds_load_u16 v41, v70 offset:10496
	;; [unrolled: 1-line block ×3, first 2 shown]
	.loc	1 38 26                         ; indirect_matmul.py:38:26
	v_perm_b32 v52, v128, v127, 0x5040100
	v_perm_b32 v128, v101, v103, 0x5040100
	;; [unrolled: 1-line block ×12, first 2 shown]
	.loc	1 38 21                         ; indirect_matmul.py:38:21
	ds_load_u16 v57, v70 offset:15168
	ds_load_u16 v38, v70 offset:8768
	;; [unrolled: 1-line block ×5, first 2 shown]
	s_wait_dscnt 0x7
	ds_load_u16_d16_hi v39, v70 offset:9152
	s_wait_dscnt 0x7
	ds_load_u16_d16_hi v41, v70 offset:10624
	;; [unrolled: 2-line block ×3, first 2 shown]
	ds_load_u16 v61, v70 offset:8960
	ds_load_u16 v60, v70 offset:8704
	;; [unrolled: 1-line block ×15, first 2 shown]
	s_wait_dscnt 0x13
	ds_load_u16_d16_hi v59, v70 offset:8576
	s_wait_dscnt 0x13
	ds_load_u16_d16_hi v36, v70 offset:8384
	ds_load_u16 v62, v70 offset:10304
	ds_load_u16_d16_hi v38, v70 offset:8896
	ds_load_u16_d16_hi v37, v70 offset:8640
	s_wait_dscnt 0x13
	ds_load_u16_d16_hi v61, v70 offset:9088
	s_wait_dscnt 0x13
	;; [unrolled: 2-line block ×3, first 2 shown]
	ds_load_u16_d16_hi v58, v70 offset:8320
	ds_load_u16 v68, v70 offset:12800
	ds_load_u16 v67, v70 offset:12544
	s_wait_dscnt 0x13
	ds_load_u16_d16_hi v42, v70 offset:10880
	ds_load_u16_d16_hi v63, v70 offset:10688
	ds_load_u16 v54, v70 offset:14400
	ds_load_u16 v122, v70 offset:14592
	s_wait_dscnt 0x14
	ds_load_u16_d16_hi v66, v70 offset:12416
	ds_load_u16_d16_hi v65, v70 offset:11200
	;; [unrolled: 1-line block ×4, first 2 shown]
	ds_load_u16 v56, v70 offset:14912
	ds_load_u16 v55, v70 offset:14656
	s_wait_dscnt 0x18
	ds_load_u16_d16_hi v69, v70 offset:13184
	ds_load_u16_d16_hi v119, v70 offset:12992
	;; [unrolled: 1-line block ×3, first 2 shown]
	ds_load_u16 v124, v70 offset:15104
	ds_load_u16 v123, v70 offset:14848
	s_wait_dscnt 0x19
	ds_load_u16_d16_hi v121, v70 offset:14464
	ds_load_u16_d16_hi v120, v70 offset:13248
	.loc	1 38 26                         ; indirect_matmul.py:38:26
	s_wait_dscnt 0x16
	v_wmma_f32_16x16x16_f16 v[9:16], v[46:49], v[36:39], v[9:16]
	v_wmma_f32_16x16x16_f16 v[1:8], v[125:128], v[36:39], v[1:8]
	v_perm_b32 v37, v75, v76, 0x5040100
	s_wait_dscnt 0x13
	v_wmma_f32_16x16x16_f16 v[25:32], v[46:49], v[58:61], v[25:32]
	v_wmma_f32_16x16x16_f16 v[17:24], v[125:128], v[58:61], v[17:24]
	v_perm_b32 v61, v91, v93, 0x5040100
	v_perm_b32 v60, v92, v94, 0x5040100
	;; [unrolled: 1-line block ×4, first 2 shown]
	.loc	1 38 21                         ; indirect_matmul.py:38:21
	ds_load_u16_d16_hi v118, v70 offset:12736
	ds_load_u16_d16_hi v117, v70 offset:12480
	s_wait_dscnt 0x14
	ds_load_u16_d16_hi v68, v70 offset:12928
	s_wait_dscnt 0x14
	;; [unrolled: 2-line block ×3, first 2 shown]
	ds_load_u16_d16_hi v122, v70 offset:14720
	ds_load_u16_d16_hi v54, v70 offset:14528
	;; [unrolled: 1-line block ×3, first 2 shown]
	.loc	1 38 26                         ; indirect_matmul.py:38:26
	v_perm_b32 v84, v114, v113, 0x5040100
	v_perm_b32 v83, v112, v110, 0x5040100
	;; [unrolled: 1-line block ×3, first 2 shown]
	s_wait_dscnt 0x10
	v_wmma_f32_16x16x16_f16 v[25:32], v[50:53], v[40:43], v[25:32]
	v_wmma_f32_16x16x16_f16 v[17:24], v[58:61], v[40:43], v[17:24]
	v_perm_b32 v43, v95, v97, 0x5040100
	v_perm_b32 v42, v96, v99, 0x5040100
	.loc	1 38 21                         ; indirect_matmul.py:38:21
	s_wait_dscnt 0xf
	ds_load_u16_d16_hi v56, v70 offset:15040
	s_wait_dscnt 0xf
	ds_load_u16_d16_hi v55, v70 offset:14784
	;; [unrolled: 2-line block ×4, first 2 shown]
	.loc	1 38 26                         ; indirect_matmul.py:38:26
	v_perm_b32 v41, v85, v88, 0x5040100
	v_perm_b32 v40, v87, v90, 0x5040100
	;; [unrolled: 1-line block ×5, first 2 shown]
	s_wait_dscnt 0x7
	v_wmma_f32_16x16x16_f16 v[25:32], v[77:80], v[66:69], v[25:32]
	v_wmma_f32_16x16x16_f16 v[17:24], v[40:43], v[66:69], v[17:24]
	s_wait_dscnt 0x4
	v_wmma_f32_16x16x16_f16 v[9:16], v[50:53], v[62:65], v[9:16]
	v_wmma_f32_16x16x16_f16 v[1:8], v[58:61], v[62:65], v[1:8]
	s_delay_alu instid0(VALU_DEP_2) | instskip(NEXT) | instid1(VALU_DEP_2)
	v_wmma_f32_16x16x16_f16 v[9:16], v[77:80], v[117:120], v[9:16]
	v_wmma_f32_16x16x16_f16 v[1:8], v[40:43], v[117:120], v[1:8]
	s_wait_dscnt 0x0
	v_wmma_f32_16x16x16_f16 v[25:32], v[81:84], v[121:124], v[25:32]
	v_wmma_f32_16x16x16_f16 v[17:24], v[34:37], v[121:124], v[17:24]
	;; [unrolled: 1-line block ×4, first 2 shown]
.LBB0_137:                              ; %._crit_edge._crit_edge
	.loc	1 26 35 is_stmt 1               ; indirect_matmul.py:26:35
	v_lshrrev_b32_e32 v33, 1, v33
	.loc	1 42 21                         ; indirect_matmul.py:42:21
	v_lshlrev_b32_e32 v0, 2, v0
	s_delay_alu instid0(VALU_DEP_2) | instskip(NEXT) | instid1(VALU_DEP_2)
	.loc	1 26 35                         ; indirect_matmul.py:26:35
	v_and_b32_e32 v33, 24, v33
	.loc	1 42 21                         ; indirect_matmul.py:42:21
	v_lshl_or_b32 v0, s11, 5, v0
	s_delay_alu instid0(VALU_DEP_2)
	.loc	1 26 35                         ; indirect_matmul.py:26:35
	v_or_b32_e32 v35, 1, v33
	v_or_b32_e32 v37, 2, v33
	;; [unrolled: 1-line block ×15, first 2 shown]
	.loc	1 42 48                         ; indirect_matmul.py:42:48
	s_wait_kmcnt 0x0
	v_mul_lo_u32 v33, v33, s0
	v_mul_lo_u32 v35, v35, s0
	;; [unrolled: 1-line block ×8, first 2 shown]
	.loc	1 42 39 is_stmt 0               ; indirect_matmul.py:42:39
	v_ashrrev_i32_e32 v34, 31, v33
	v_ashrrev_i32_e32 v36, 31, v35
	.loc	1 42 48                         ; indirect_matmul.py:42:48
	v_mul_lo_u32 v45, v45, s0
	v_mul_lo_u32 v63, v38, s0
	.loc	1 42 39                         ; indirect_matmul.py:42:39
	v_ashrrev_i32_e32 v38, 31, v37
	v_lshlrev_b64_e32 v[33:34], 2, v[33:34]
	.loc	1 42 21                         ; indirect_matmul.py:42:21
	v_add_co_u32 v0, s1, s2, v0
	.loc	1 42 48                         ; indirect_matmul.py:42:48
	v_mul_lo_u32 v47, v47, s0
	v_mul_lo_u32 v61, v40, s0
	.loc	1 42 39                         ; indirect_matmul.py:42:39
	v_ashrrev_i32_e32 v40, 31, v39
	v_lshlrev_b64_e32 v[35:36], 2, v[35:36]
	.loc	1 42 21                         ; indirect_matmul.py:42:21
	s_wait_alu depctr_va_sdst(0)
	v_add_co_ci_u32_e64 v65, null, s3, 0, s1
	.loc	1 42 48                         ; indirect_matmul.py:42:48
	v_mul_lo_u32 v49, v48, s0
	v_mul_lo_u32 v59, v42, s0
	.loc	1 42 39                         ; indirect_matmul.py:42:39
	v_ashrrev_i32_e32 v42, 31, v41
	v_lshlrev_b64_e32 v[37:38], 2, v[37:38]
	.loc	1 42 48                         ; indirect_matmul.py:42:48
	v_mul_lo_u32 v51, v46, s0
	v_mul_lo_u32 v55, v44, s0
	.loc	1 42 39                         ; indirect_matmul.py:42:39
	v_ashrrev_i32_e32 v44, 31, v43
	v_add_co_u32 v33, vcc_lo, v0, v33
	v_lshlrev_b64_e32 v[39:40], 2, v[39:40]
	v_ashrrev_i32_e32 v46, 31, v45
	s_wait_alu depctr_va_vcc(0)
	v_add_co_ci_u32_e64 v34, null, v65, v34, vcc_lo
	v_add_co_u32 v35, vcc_lo, v0, v35
	v_lshlrev_b64_e32 v[41:42], 2, v[41:42]
	v_ashrrev_i32_e32 v48, 31, v47
	s_wait_alu depctr_va_vcc(0)
	v_add_co_ci_u32_e64 v36, null, v65, v36, vcc_lo
	v_add_co_u32 v37, vcc_lo, v0, v37
	v_lshlrev_b64_e32 v[43:44], 2, v[43:44]
	v_ashrrev_i32_e32 v50, 31, v49
	s_wait_alu depctr_va_vcc(0)
	v_add_co_ci_u32_e64 v38, null, v65, v38, vcc_lo
	v_add_co_u32 v39, vcc_lo, v0, v39
	v_lshlrev_b64_e32 v[45:46], 2, v[45:46]
	v_ashrrev_i32_e32 v52, 31, v51
	s_wait_alu depctr_va_vcc(0)
	v_add_co_ci_u32_e64 v40, null, v65, v40, vcc_lo
	v_add_co_u32 v41, vcc_lo, v0, v41
	v_lshlrev_b64_e32 v[47:48], 2, v[47:48]
	v_ashrrev_i32_e32 v54, 31, v53
	s_wait_alu depctr_va_vcc(0)
	v_add_co_ci_u32_e64 v42, null, v65, v42, vcc_lo
	v_add_co_u32 v43, vcc_lo, v0, v43
	v_lshlrev_b64_e32 v[49:50], 2, v[49:50]
	v_ashrrev_i32_e32 v56, 31, v55
	s_wait_alu depctr_va_vcc(0)
	v_add_co_ci_u32_e64 v44, null, v65, v44, vcc_lo
	v_add_co_u32 v45, vcc_lo, v0, v45
	v_lshlrev_b64_e32 v[51:52], 2, v[51:52]
	v_ashrrev_i32_e32 v58, 31, v57
	s_wait_alu depctr_va_vcc(0)
	v_add_co_ci_u32_e64 v46, null, v65, v46, vcc_lo
	v_add_co_u32 v47, vcc_lo, v0, v47
	v_lshlrev_b64_e32 v[53:54], 2, v[53:54]
	v_ashrrev_i32_e32 v60, 31, v59
	s_wait_alu depctr_va_vcc(0)
	v_add_co_ci_u32_e64 v48, null, v65, v48, vcc_lo
	v_add_co_u32 v49, vcc_lo, v0, v49
	v_lshlrev_b64_e32 v[55:56], 2, v[55:56]
	v_ashrrev_i32_e32 v62, 31, v61
	s_wait_alu depctr_va_vcc(0)
	v_add_co_ci_u32_e64 v50, null, v65, v50, vcc_lo
	v_add_co_u32 v51, vcc_lo, v0, v51
	v_lshlrev_b64_e32 v[57:58], 2, v[57:58]
	v_ashrrev_i32_e32 v64, 31, v63
	s_wait_alu depctr_va_vcc(0)
	v_add_co_ci_u32_e64 v52, null, v65, v52, vcc_lo
	v_add_co_u32 v53, vcc_lo, v0, v53
	v_lshlrev_b64_e32 v[59:60], 2, v[59:60]
	s_wait_alu depctr_va_vcc(0)
	v_add_co_ci_u32_e64 v54, null, v65, v54, vcc_lo
	v_add_co_u32 v55, vcc_lo, v0, v55
	v_lshlrev_b64_e32 v[61:62], 2, v[61:62]
	s_wait_alu depctr_va_vcc(0)
	v_add_co_ci_u32_e64 v56, null, v65, v56, vcc_lo
	;; [unrolled: 4-line block ×3, first 2 shown]
	v_add_co_u32 v59, vcc_lo, v0, v59
	s_wait_alu depctr_va_vcc(0)
	v_add_co_ci_u32_e64 v60, null, v65, v60, vcc_lo
	v_add_co_u32 v61, vcc_lo, v0, v61
	s_wait_alu depctr_va_vcc(0)
	v_add_co_ci_u32_e64 v62, null, v65, v62, vcc_lo
	;; [unrolled: 3-line block ×3, first 2 shown]
	.loc	1 43 23 is_stmt 1               ; indirect_matmul.py:43:23
	s_clause 0x1f
	global_store_b32 v[33:34], v25, off
	global_store_b32 v[35:36], v26, off
	;; [unrolled: 1-line block ×16, first 2 shown]
	global_store_b32 v[33:34], v9, off offset:128
	global_store_b32 v[35:36], v10, off offset:128
	;; [unrolled: 1-line block ×16, first 2 shown]
	.loc	1 43 4 is_stmt 0                ; indirect_matmul.py:43:4
	s_nop 0
	s_sendmsg sendmsg(MSG_DEALLOC_VGPRS)
	s_endpgm
.Ltmp1:
	.section	.rodata,"a",@progbits
	.p2align	6, 0x0
	.amdhsa_kernel indirect_matmul_kernel
		.amdhsa_group_segment_fixed_size 0
		.amdhsa_private_segment_fixed_size 0
		.amdhsa_kernarg_size 80
		.amdhsa_user_sgpr_count 2
		.amdhsa_user_sgpr_dispatch_ptr 0
		.amdhsa_user_sgpr_queue_ptr 0
		.amdhsa_user_sgpr_kernarg_segment_ptr 1
		.amdhsa_user_sgpr_dispatch_id 0
		.amdhsa_user_sgpr_private_segment_size 0
		.amdhsa_wavefront_size32 1
		.amdhsa_uses_dynamic_stack 0
		.amdhsa_enable_private_segment 0
		.amdhsa_system_sgpr_workgroup_id_x 1
		.amdhsa_system_sgpr_workgroup_id_y 1
		.amdhsa_system_sgpr_workgroup_id_z 1
		.amdhsa_system_sgpr_workgroup_info 0
		.amdhsa_system_vgpr_workitem_id 0
		.amdhsa_next_free_vgpr 173
		.amdhsa_next_free_sgpr 48
		.amdhsa_reserve_vcc 1
		.amdhsa_float_round_mode_32 0
		.amdhsa_float_round_mode_16_64 0
		.amdhsa_float_denorm_mode_32 3
		.amdhsa_float_denorm_mode_16_64 3
		.amdhsa_fp16_overflow 0
		.amdhsa_workgroup_processor_mode 1
		.amdhsa_memory_ordered 1
		.amdhsa_forward_progress 1
		.amdhsa_inst_pref_size 121
		.amdhsa_round_robin_scheduling 0
		.amdhsa_exception_fp_ieee_invalid_op 0
		.amdhsa_exception_fp_denorm_src 0
		.amdhsa_exception_fp_ieee_div_zero 0
		.amdhsa_exception_fp_ieee_overflow 0
		.amdhsa_exception_fp_ieee_underflow 0
		.amdhsa_exception_fp_ieee_inexact 0
		.amdhsa_exception_int_div_zero 0
	.end_amdhsa_kernel
	.text
.Lfunc_end0:
	.size	indirect_matmul_kernel, .Lfunc_end0-indirect_matmul_kernel
	.cfi_endproc
                                        ; -- End function
	.set indirect_matmul_kernel.num_vgpr, 173
	.set indirect_matmul_kernel.num_agpr, 0
	.set indirect_matmul_kernel.numbered_sgpr, 48
	.set indirect_matmul_kernel.num_named_barrier, 0
	.set indirect_matmul_kernel.private_seg_size, 0
	.set indirect_matmul_kernel.uses_vcc, 1
	.set indirect_matmul_kernel.uses_flat_scratch, 0
	.set indirect_matmul_kernel.has_dyn_sized_stack, 0
	.set indirect_matmul_kernel.has_recursion, 0
	.set indirect_matmul_kernel.has_indirect_call, 0
	.section	.AMDGPU.csdata,"",@progbits
; Kernel info:
; codeLenInByte = 15396
; TotalNumSgprs: 50
; NumVgprs: 173
; ScratchSize: 0
; MemoryBound: 0
; FloatMode: 240
; IeeeMode: 1
; LDSByteSize: 0 bytes/workgroup (compile time only)
; SGPRBlocks: 0
; VGPRBlocks: 21
; NumSGPRsForWavesPerEU: 50
; NumVGPRsForWavesPerEU: 173
; Occupancy: 8
; WaveLimiterHint : 1
; COMPUTE_PGM_RSRC2:SCRATCH_EN: 0
; COMPUTE_PGM_RSRC2:USER_SGPR: 2
; COMPUTE_PGM_RSRC2:TRAP_HANDLER: 0
; COMPUTE_PGM_RSRC2:TGID_X_EN: 1
; COMPUTE_PGM_RSRC2:TGID_Y_EN: 1
; COMPUTE_PGM_RSRC2:TGID_Z_EN: 1
; COMPUTE_PGM_RSRC2:TIDIG_COMP_CNT: 0
	.text
	.p2alignl 7, 3214868480
	.fill 96, 4, 3214868480
	.section	.AMDGPU.gpr_maximums,"",@progbits
	.set amdgpu.max_num_vgpr, 0
	.set amdgpu.max_num_agpr, 0
	.set amdgpu.max_num_sgpr, 0
	.set amdgpu.max_num_named_barrier, 0
	.text
	.section	.debug_abbrev,"",@progbits
	.byte	1                               ; Abbreviation Code
	.byte	17                              ; DW_TAG_compile_unit
	.byte	0                               ; DW_CHILDREN_no
	.byte	37                              ; DW_AT_producer
	.byte	14                              ; DW_FORM_strp
	.byte	19                              ; DW_AT_language
	.byte	5                               ; DW_FORM_data2
	.byte	3                               ; DW_AT_name
	.byte	14                              ; DW_FORM_strp
	.byte	16                              ; DW_AT_stmt_list
	.byte	23                              ; DW_FORM_sec_offset
	.byte	27                              ; DW_AT_comp_dir
	.byte	14                              ; DW_FORM_strp
	.byte	17                              ; DW_AT_low_pc
	.byte	1                               ; DW_FORM_addr
	.byte	18                              ; DW_AT_high_pc
	.byte	6                               ; DW_FORM_data4
	.byte	0                               ; EOM(1)
	.byte	0                               ; EOM(2)
	;; [unrolled: 1-line block ×3, first 2 shown]
	.section	.debug_info,"",@progbits
.Lcu_begin0:
	.long	.Ldebug_info_end0-.Ldebug_info_start0 ; Length of Unit
.Ldebug_info_start0:
	.short	4                               ; DWARF version number
	.long	.debug_abbrev                   ; Offset Into Abbrev. Section
	.byte	8                               ; Address Size (in bytes)
	.byte	1                               ; Abbrev [1] 0xb:0x1f DW_TAG_compile_unit
	.long	.Linfo_string0                  ; DW_AT_producer
	.short	2                               ; DW_AT_language
	.long	.Linfo_string1                  ; DW_AT_name
	.long	.Lline_table_start0             ; DW_AT_stmt_list
	.long	.Linfo_string2                  ; DW_AT_comp_dir
	.quad	.Lfunc_begin0                   ; DW_AT_low_pc
	.long	.Lfunc_end0-.Lfunc_begin0       ; DW_AT_high_pc
.Ldebug_info_end0:
	.section	.debug_str,"MS",@progbits,1
.Linfo_string0:
	.asciz	"triton"                        ; string offset=0
.Linfo_string1:
	.asciz	"indirect_matmul.py"            ; string offset=7
.Linfo_string2:
	.asciz	"/root/src/amdgpu-assembly/repos/triton-lang__triton-aot" ; string offset=26
	.section	".note.GNU-stack","",@progbits
	.amdgpu_metadata
---
amdhsa.kernels:
  - .args:
      - .address_space:  global
        .offset:         0
        .size:           8
        .value_kind:     global_buffer
      - .offset:         8
        .size:           4
        .value_kind:     by_value
      - .address_space:  global
        .offset:         16
        .size:           8
        .value_kind:     global_buffer
      - .offset:         24
        .size:           4
        .value_kind:     by_value
      - .address_space:  global
        .offset:         32
        .size:           8
        .value_kind:     global_buffer
      - .offset:         40
        .size:           4
        .value_kind:     by_value
      - .address_space:  global
        .offset:         48
        .size:           8
        .value_kind:     global_buffer
      - .offset:         56
        .size:           4
        .value_kind:     by_value
      - .address_space:  global
        .offset:         64
        .size:           8
        .value_kind:     global_buffer
      - .address_space:  global
        .offset:         72
        .size:           8
        .value_kind:     global_buffer
    .group_segment_fixed_size: 0
    .kernarg_segment_align: 8
    .kernarg_segment_size: 80
    .max_flat_workgroup_size: 128
    .name:           indirect_matmul_kernel
    .private_segment_fixed_size: 0
    .sgpr_count:     50
    .sgpr_spill_count: 0
    .symbol:         indirect_matmul_kernel.kd
    .uniform_work_group_size: 1
    .uses_dynamic_stack: false
    .vgpr_count:     173
    .vgpr_spill_count: 0
    .wavefront_size: 32
    .workgroup_processor_mode: 1
amdhsa.target:   amdgcn-amd-amdhsa--gfx1201
amdhsa.version:
  - 1
  - 2
...

	.end_amdgpu_metadata
	.section	.debug_line,"",@progbits
.Lline_table_start0:
